;; amdgpu-corpus repo=ROCm/rocFFT kind=compiled arch=gfx906 opt=O3
	.text
	.amdgcn_target "amdgcn-amd-amdhsa--gfx906"
	.amdhsa_code_object_version 6
	.protected	bluestein_single_fwd_len972_dim1_sp_op_CI_CI ; -- Begin function bluestein_single_fwd_len972_dim1_sp_op_CI_CI
	.globl	bluestein_single_fwd_len972_dim1_sp_op_CI_CI
	.p2align	8
	.type	bluestein_single_fwd_len972_dim1_sp_op_CI_CI,@function
bluestein_single_fwd_len972_dim1_sp_op_CI_CI: ; @bluestein_single_fwd_len972_dim1_sp_op_CI_CI
; %bb.0:
	s_load_dwordx4 s[16:19], s[4:5], 0x28
	v_mul_u32_u24_e32 v1, 0x195, v0
	v_add_u32_sdwa v32, s6, v1 dst_sel:DWORD dst_unused:UNUSED_PAD src0_sel:DWORD src1_sel:WORD_1
	v_mov_b32_e32 v33, 0
	s_waitcnt lgkmcnt(0)
	v_cmp_gt_u64_e32 vcc, s[16:17], v[32:33]
	s_and_saveexec_b64 s[0:1], vcc
	s_cbranch_execz .LBB0_2
; %bb.1:
	s_load_dwordx4 s[0:3], s[4:5], 0x18
	s_load_dwordx4 s[8:11], s[4:5], 0x0
	s_movk_i32 s6, 0xa2
	v_mul_lo_u16_sdwa v1, v1, s6 dst_sel:DWORD dst_unused:UNUSED_PAD src0_sel:WORD_1 src1_sel:DWORD
	v_sub_u16_e32 v52, v0, v1
	s_waitcnt lgkmcnt(0)
	s_load_dwordx4 s[12:15], s[0:1], 0x0
	v_lshlrev_b32_e32 v53, 3, v52
	v_mov_b32_e32 v51, 0xfffff0d0
	global_load_dwordx2 v[41:42], v53, s[8:9]
	v_add_u32_e32 v55, 0x1400, v53
	s_waitcnt lgkmcnt(0)
	v_mad_u64_u32 v[0:1], s[0:1], s14, v32, 0
	v_mad_u64_u32 v[2:3], s[0:1], s12, v52, 0
	s_mul_i32 s14, s12, 0xa20
	v_add_u32_e32 v54, 0x800, v53
	v_mad_u64_u32 v[4:5], s[0:1], s15, v32, v[1:2]
	s_load_dwordx2 s[4:5], s[4:5], 0x38
	v_mad_u64_u32 v[5:6], s[0:1], s13, v52, v[3:4]
	v_mov_b32_e32 v1, v4
	v_lshlrev_b64 v[0:1], 3, v[0:1]
	v_mov_b32_e32 v6, s19
	v_mov_b32_e32 v3, v5
	v_add_co_u32_e32 v4, vcc, s18, v0
	v_addc_co_u32_e32 v5, vcc, v6, v1, vcc
	v_lshlrev_b64 v[0:1], 3, v[2:3]
	s_mul_i32 s0, s13, 0xa20
	v_add_co_u32_e32 v0, vcc, v4, v0
	v_addc_co_u32_e32 v1, vcc, v5, v1, vcc
	v_mov_b32_e32 v4, s9
	v_add_co_u32_e32 v56, vcc, s8, v53
	s_mul_hi_u32 s1, s12, 0xa20
	v_addc_co_u32_e32 v57, vcc, 0, v4, vcc
	s_add_i32 s7, s1, s0
	global_load_dwordx2 v[2:3], v[0:1], off
	v_mov_b32_e32 v4, s7
	v_add_co_u32_e32 v0, vcc, s14, v0
	v_addc_co_u32_e32 v1, vcc, v1, v4, vcc
	v_mov_b32_e32 v5, s7
	v_add_co_u32_e32 v4, vcc, s14, v0
	v_addc_co_u32_e32 v5, vcc, v1, v5, vcc
	s_movk_i32 s0, 0x1000
	global_load_dwordx2 v[6:7], v[0:1], off
	global_load_dwordx2 v[8:9], v[4:5], off
	v_add_co_u32_e32 v45, vcc, s0, v56
	v_mad_u64_u32 v[0:1], s[0:1], s12, v51, v[4:5]
	s_mul_i32 s0, s13, 0xfffff0d0
	s_sub_i32 s0, s0, s12
	v_addc_co_u32_e32 v46, vcc, 0, v57, vcc
	global_load_dwordx2 v[43:44], v53, s[8:9] offset:2592
	v_add_u32_e32 v1, s0, v1
	global_load_dwordx2 v[37:38], v[45:46], off offset:1088
	global_load_dwordx2 v[4:5], v[0:1], off
	global_load_dwordx2 v[33:34], v53, s[8:9] offset:3888
	global_load_dwordx2 v[39:40], v53, s[8:9] offset:1296
	v_mov_b32_e32 v10, s7
	v_add_co_u32_e32 v0, vcc, s14, v0
	v_addc_co_u32_e32 v1, vcc, v1, v10, vcc
	global_load_dwordx2 v[10:11], v[0:1], off
	v_mov_b32_e32 v12, s7
	v_add_co_u32_e32 v0, vcc, s14, v0
	v_addc_co_u32_e32 v1, vcc, v1, v12, vcc
	global_load_dwordx2 v[35:36], v[45:46], off offset:2384
	global_load_dwordx2 v[12:13], v[0:1], off
	s_load_dwordx4 s[0:3], s[2:3], 0x0
	v_add_co_u32_e32 v24, vcc, s6, v52
	s_movk_i32 s6, 0xab
	s_waitcnt vmcnt(10)
	v_mul_f32_e32 v0, v3, v42
	v_mul_f32_e32 v1, v2, v42
	v_fmac_f32_e32 v0, v2, v41
	v_fma_f32 v1, v3, v41, -v1
	s_waitcnt vmcnt(7)
	v_mul_f32_e32 v2, v7, v44
	v_mul_f32_e32 v3, v6, v44
	v_fmac_f32_e32 v2, v6, v43
	v_fma_f32 v3, v7, v43, -v3
	s_waitcnt vmcnt(6)
	v_mul_f32_e32 v6, v9, v38
	v_mul_f32_e32 v7, v8, v38
	ds_write_b64 v53, v[2:3] offset:2592
	s_waitcnt vmcnt(3)
	v_mul_f32_e32 v2, v5, v40
	v_mul_f32_e32 v3, v4, v40
	v_fmac_f32_e32 v6, v8, v37
	v_fma_f32 v7, v9, v37, -v7
	v_fmac_f32_e32 v2, v4, v39
	v_fma_f32 v3, v5, v39, -v3
	ds_write_b64 v53, v[6:7] offset:5184
	s_waitcnt vmcnt(2)
	v_mul_f32_e32 v4, v11, v34
	v_mul_f32_e32 v5, v10, v34
	ds_write2_b64 v53, v[0:1], v[2:3] offset1:162
	s_waitcnt vmcnt(0)
	v_mul_f32_e32 v0, v13, v36
	v_mul_f32_e32 v1, v12, v36
	v_fmac_f32_e32 v4, v10, v33
	v_fma_f32 v5, v11, v33, -v5
	v_fmac_f32_e32 v0, v12, v35
	v_fma_f32 v1, v13, v35, -v1
	ds_write_b64 v53, v[4:5] offset:3888
	ds_write_b64 v53, v[0:1] offset:6480
	s_waitcnt lgkmcnt(0)
	s_barrier
	ds_read2_b64 v[0:3], v53 offset1:162
	ds_read2_b64 v[4:7], v54 offset0:68 offset1:230
	ds_read2_b64 v[8:11], v55 offset0:8 offset1:170
	s_waitcnt lgkmcnt(0)
	s_barrier
	v_add_f32_e32 v18, v2, v6
	v_add_f32_e32 v13, v4, v8
	;; [unrolled: 1-line block ×4, first 2 shown]
	v_sub_f32_e32 v14, v5, v9
	v_add_f32_e32 v15, v1, v5
	v_sub_f32_e32 v17, v4, v8
	v_add_f32_e32 v19, v6, v10
	;; [unrolled: 2-line block ×3, first 2 shown]
	v_fma_f32 v0, -0.5, v13, v0
	v_fma_f32 v1, -0.5, v16, v1
	v_mul_lo_u16_e32 v10, 3, v52
	v_add_f32_e32 v4, v12, v8
	v_add_f32_e32 v5, v15, v9
	v_mov_b32_e32 v8, v0
	v_mov_b32_e32 v9, v1
	v_lshlrev_b32_e32 v58, 3, v10
	v_fmac_f32_e32 v0, 0xbf5db3d7, v14
	v_fmac_f32_e32 v1, 0x3f5db3d7, v17
	;; [unrolled: 1-line block ×4, first 2 shown]
	v_fma_f32 v2, -0.5, v19, v2
	ds_write_b64 v58, v[0:1] offset:16
	v_mul_u32_u24_e32 v0, 3, v24
	v_sub_f32_e32 v20, v7, v11
	ds_write2_b64 v58, v[4:5], v[8:9] offset1:1
	v_mov_b32_e32 v4, v2
	v_lshlrev_b32_e32 v59, 3, v0
	v_mul_lo_u16_sdwa v0, v52, s6 dst_sel:DWORD dst_unused:UNUSED_PAD src0_sel:BYTE_0 src1_sel:DWORD
	v_fmac_f32_e32 v4, 0x3f5db3d7, v20
	v_fmac_f32_e32 v2, 0xbf5db3d7, v20
	v_lshrrev_b16_e32 v20, 9, v0
	v_mul_lo_u16_e32 v0, 3, v20
	v_add_f32_e32 v21, v3, v7
	v_sub_u16_e32 v0, v52, v0
	v_add_f32_e32 v22, v7, v11
	v_add_f32_e32 v7, v21, v11
	v_and_b32_e32 v21, 0xff, v0
	v_mad_u64_u32 v[8:9], s[6:7], v21, 40, s[10:11]
	v_fmac_f32_e32 v3, -0.5, v22
	v_mov_b32_e32 v5, v3
	v_fmac_f32_e32 v5, 0xbf5db3d7, v23
	v_fmac_f32_e32 v3, 0x3f5db3d7, v23
	ds_write2_b64 v59, v[6:7], v[4:5] offset1:1
	ds_write_b64 v59, v[2:3] offset:16
	s_waitcnt lgkmcnt(0)
	s_barrier
	global_load_dwordx4 v[0:3], v[8:9], off
	global_load_dwordx4 v[4:7], v[8:9], off offset:16
	global_load_dwordx2 v[47:48], v[8:9], off offset:32
	ds_read2_b64 v[8:11], v54 offset0:68 offset1:230
	ds_read2_b64 v[12:15], v55 offset0:8 offset1:170
	ds_read2_b64 v[16:19], v53 offset1:162
	s_waitcnt vmcnt(0) lgkmcnt(0)
	s_barrier
	s_mov_b32 s6, 0xe38f
	v_mul_f32_e32 v22, v9, v3
	v_mul_f32_e32 v23, v8, v3
	;; [unrolled: 1-line block ×9, first 2 shown]
	v_fma_f32 v8, v8, v2, -v22
	v_fmac_f32_e32 v23, v9, v2
	v_fmac_f32_e32 v28, v13, v6
	v_mul_f32_e32 v49, v18, v1
	v_fma_f32 v9, v10, v4, -v25
	v_fmac_f32_e32 v26, v11, v4
	v_fma_f32 v10, v12, v6, -v27
	v_fma_f32 v11, v14, v47, -v29
	v_fmac_f32_e32 v30, v15, v47
	v_fma_f32 v12, v18, v0, -v31
	v_add_f32_e32 v14, v23, v28
	v_add_f32_e32 v15, v16, v8
	;; [unrolled: 1-line block ×3, first 2 shown]
	v_fmac_f32_e32 v49, v19, v0
	v_add_f32_e32 v13, v8, v10
	v_fma_f32 v14, -0.5, v14, v17
	v_add_f32_e32 v17, v18, v28
	v_add_f32_e32 v15, v15, v10
	v_sub_f32_e32 v18, v8, v10
	v_add_f32_e32 v10, v9, v11
	v_add_f32_e32 v8, v12, v9
	v_fmac_f32_e32 v12, -0.5, v10
	v_add_f32_e32 v10, v49, v26
	v_add_f32_e32 v19, v10, v30
	;; [unrolled: 1-line block ×3, first 2 shown]
	v_fmac_f32_e32 v49, -0.5, v10
	v_sub_f32_e32 v25, v9, v11
	v_mov_b32_e32 v9, v49
	v_fma_f32 v13, -0.5, v13, v16
	v_sub_f32_e32 v16, v23, v28
	v_sub_f32_e32 v22, v26, v30
	v_add_f32_e32 v23, v8, v11
	v_mov_b32_e32 v8, v12
	v_fmac_f32_e32 v9, 0xbf5db3d7, v25
	v_fmac_f32_e32 v8, 0x3f5db3d7, v22
	v_mul_f32_e32 v26, 0x3f5db3d7, v9
	v_fmac_f32_e32 v26, 0.5, v8
	v_mul_f32_e32 v27, 0xbf5db3d7, v8
	v_mul_u32_u24_e32 v8, 18, v20
	v_add_lshl_u32 v60, v8, v21, 3
	v_mov_b32_e32 v20, v13
	v_mov_b32_e32 v21, v14
	v_fmac_f32_e32 v27, 0.5, v9
	v_fmac_f32_e32 v20, 0x3f5db3d7, v16
	v_fmac_f32_e32 v21, 0xbf5db3d7, v18
	v_add_f32_e32 v8, v15, v23
	v_add_f32_e32 v9, v17, v19
	;; [unrolled: 1-line block ×4, first 2 shown]
	v_fmac_f32_e32 v12, 0xbf5db3d7, v22
	v_fmac_f32_e32 v49, 0x3f5db3d7, v25
	ds_write2_b64 v60, v[8:9], v[10:11] offset1:3
	v_sub_f32_e32 v8, v15, v23
	v_fmac_f32_e32 v13, 0xbf5db3d7, v16
	v_mul_f32_e32 v15, -0.5, v12
	v_mul_f32_e32 v16, -0.5, v49
	v_fmac_f32_e32 v14, 0x3f5db3d7, v18
	v_fmac_f32_e32 v15, 0x3f5db3d7, v49
	;; [unrolled: 1-line block ×3, first 2 shown]
	v_sub_f32_e32 v9, v17, v19
	v_add_f32_e32 v10, v13, v15
	v_add_f32_e32 v11, v14, v16
	ds_write2_b64 v60, v[10:11], v[8:9] offset0:6 offset1:9
	v_sub_f32_e32 v8, v20, v26
	v_sub_f32_e32 v9, v21, v27
	;; [unrolled: 1-line block ×4, first 2 shown]
	ds_write2_b64 v60, v[8:9], v[10:11] offset0:12 offset1:15
	v_mov_b32_e32 v8, 57
	v_mul_lo_u16_sdwa v8, v52, v8 dst_sel:DWORD dst_unused:UNUSED_PAD src0_sel:BYTE_0 src1_sel:DWORD
	v_mul_u32_u24_sdwa v12, v24, s6 dst_sel:DWORD dst_unused:UNUSED_PAD src0_sel:WORD_0 src1_sel:DWORD
	v_lshrrev_b16_e32 v25, 10, v8
	v_lshrrev_b32_e32 v27, 20, v12
	v_mul_lo_u16_e32 v8, 18, v25
	v_mul_lo_u16_e32 v12, 18, v27
	v_sub_u16_e32 v8, v52, v8
	v_sub_u16_e32 v28, v24, v12
	v_and_b32_e32 v26, 0xff, v8
	v_lshlrev_b16_e32 v12, 4, v28
	v_lshlrev_b32_e32 v8, 4, v26
	v_mov_b32_e32 v13, s11
	v_add_co_u32_e32 v12, vcc, s10, v12
	s_waitcnt lgkmcnt(0)
	s_barrier
	global_load_dwordx4 v[8:11], v8, s[10:11] offset:120
	v_addc_co_u32_e32 v13, vcc, 0, v13, vcc
	global_load_dwordx4 v[12:15], v[12:13], off offset:120
	ds_read2_b64 v[16:19], v54 offset0:68 offset1:230
	ds_read2_b64 v[20:23], v55 offset0:8 offset1:170
	v_lshlrev_b32_e32 v24, 4, v24
	s_waitcnt vmcnt(1) lgkmcnt(1)
	v_mul_f32_e32 v29, v17, v9
	v_mul_f32_e32 v30, v16, v9
	v_fma_f32 v29, v16, v8, -v29
	s_waitcnt vmcnt(0)
	v_mul_f32_e32 v31, v19, v13
	v_mul_f32_e32 v49, v18, v13
	s_waitcnt lgkmcnt(0)
	v_mul_f32_e32 v16, v21, v11
	v_fmac_f32_e32 v30, v17, v8
	v_fma_f32 v31, v18, v12, -v31
	v_fmac_f32_e32 v49, v19, v12
	v_fma_f32 v50, v20, v10, -v16
	ds_read2_b64 v[16:19], v53 offset1:162
	v_mul_f32_e32 v61, v20, v11
	v_fmac_f32_e32 v61, v21, v10
	v_mul_f32_e32 v20, v23, v15
	v_mul_f32_e32 v63, v22, v15
	v_fma_f32 v62, v22, v14, -v20
	v_fmac_f32_e32 v63, v23, v14
	v_add_f32_e32 v22, v30, v61
	v_add_f32_e32 v23, v29, v50
	s_waitcnt lgkmcnt(0)
	v_add_f32_e32 v20, v16, v29
	v_add_f32_e32 v21, v17, v30
	v_fma_f32 v16, -0.5, v23, v16
	v_fma_f32 v17, -0.5, v22, v17
	v_mul_u32_u24_e32 v22, 54, v25
	v_add_f32_e32 v21, v21, v61
	v_sub_f32_e32 v64, v30, v61
	v_sub_f32_e32 v29, v29, v50
	v_add_lshl_u32 v61, v22, v26, 3
	v_mov_b32_e32 v22, v16
	v_mov_b32_e32 v23, v17
	v_add_f32_e32 v20, v20, v50
	v_fmac_f32_e32 v22, 0x3f5db3d7, v64
	v_fmac_f32_e32 v23, 0xbf5db3d7, v29
	;; [unrolled: 1-line block ×4, first 2 shown]
	s_barrier
	ds_write2_b64 v61, v[20:21], v[22:23] offset1:18
	ds_write_b64 v61, v[16:17] offset:288
	v_add_f32_e32 v17, v31, v62
	v_add_f32_e32 v20, v49, v63
	;; [unrolled: 1-line block ×3, first 2 shown]
	v_fma_f32 v18, -0.5, v17, v18
	v_add_f32_e32 v17, v19, v49
	v_fmac_f32_e32 v19, -0.5, v20
	v_sub_f32_e32 v22, v49, v63
	v_sub_f32_e32 v23, v31, v62
	v_mad_legacy_u16 v25, v27, 54, v28
	v_mov_b32_e32 v20, v18
	v_mov_b32_e32 v21, v19
	v_add_f32_e32 v16, v16, v62
	v_add_f32_e32 v17, v17, v63
	v_fmac_f32_e32 v20, 0x3f5db3d7, v22
	v_fmac_f32_e32 v21, 0xbf5db3d7, v23
	v_lshlrev_b32_e32 v63, 3, v25
	ds_write2_b64 v63, v[16:17], v[20:21] offset1:18
	v_mov_b32_e32 v16, 19
	v_mul_lo_u16_sdwa v16, v52, v16 dst_sel:DWORD dst_unused:UNUSED_PAD src0_sel:BYTE_0 src1_sel:DWORD
	v_lshrrev_b16_e32 v29, 10, v16
	v_mul_lo_u16_e32 v16, 54, v29
	v_sub_u16_e32 v16, v52, v16
	v_and_b32_e32 v30, 0xff, v16
	v_mad_u64_u32 v[25:26], s[6:7], v30, 40, s[10:11]
	v_fmac_f32_e32 v18, 0xbf5db3d7, v22
	v_fmac_f32_e32 v19, 0x3f5db3d7, v23
	ds_write_b64 v63, v[18:19] offset:288
	s_waitcnt lgkmcnt(0)
	s_barrier
	global_load_dwordx4 v[16:19], v[25:26], off offset:408
	global_load_dwordx4 v[20:23], v[25:26], off offset:424
	global_load_dwordx2 v[49:50], v[25:26], off offset:440
	ds_read2_b64 v[25:28], v54 offset0:68 offset1:230
	ds_read2_b64 v[64:67], v55 offset0:8 offset1:170
	ds_read2_b64 v[68:71], v53 offset1:162
	s_waitcnt vmcnt(0) lgkmcnt(0)
	s_barrier
	s_movk_i32 s6, 0x1e60
	v_mul_f32_e32 v31, v26, v19
	v_mul_f32_e32 v62, v25, v19
	;; [unrolled: 1-line block ×7, first 2 shown]
	v_fma_f32 v25, v25, v18, -v31
	v_mul_f32_e32 v75, v64, v23
	v_mul_f32_e32 v78, v71, v17
	v_fmac_f32_e32 v62, v26, v18
	v_fma_f32 v26, v27, v20, -v72
	v_fmac_f32_e32 v73, v28, v20
	v_fma_f32 v27, v64, v22, -v74
	v_fma_f32 v28, v66, v49, -v76
	v_fmac_f32_e32 v77, v67, v49
	v_mul_f32_e32 v64, v70, v17
	v_add_f32_e32 v67, v68, v25
	v_fmac_f32_e32 v75, v65, v22
	v_fma_f32 v31, v70, v16, -v78
	v_fmac_f32_e32 v64, v71, v16
	v_add_f32_e32 v65, v25, v27
	v_add_f32_e32 v67, v67, v27
	v_sub_f32_e32 v70, v25, v27
	v_add_f32_e32 v27, v26, v28
	v_add_f32_e32 v25, v31, v26
	v_fmac_f32_e32 v31, -0.5, v27
	v_add_f32_e32 v27, v64, v73
	v_add_f32_e32 v71, v27, v77
	;; [unrolled: 1-line block ×3, first 2 shown]
	v_fmac_f32_e32 v64, -0.5, v27
	v_sub_f32_e32 v74, v26, v28
	v_mov_b32_e32 v26, v64
	v_fma_f32 v65, -0.5, v65, v68
	v_add_f32_e32 v66, v62, v75
	v_add_f32_e32 v68, v69, v62
	v_sub_f32_e32 v72, v73, v77
	v_add_f32_e32 v73, v25, v28
	v_mov_b32_e32 v25, v31
	v_fmac_f32_e32 v26, 0xbf5db3d7, v74
	v_fma_f32 v66, -0.5, v66, v69
	v_sub_f32_e32 v69, v62, v75
	v_add_f32_e32 v68, v68, v75
	v_fmac_f32_e32 v25, 0x3f5db3d7, v72
	v_mul_f32_e32 v75, 0x3f5db3d7, v26
	v_fmac_f32_e32 v75, 0.5, v25
	v_mul_f32_e32 v76, 0xbf5db3d7, v25
	v_mul_u32_u24_e32 v25, 0x144, v29
	v_add_lshl_u32 v62, v25, v30, 3
	v_mov_b32_e32 v29, v65
	v_mov_b32_e32 v30, v66
	v_fmac_f32_e32 v76, 0.5, v26
	v_fmac_f32_e32 v29, 0x3f5db3d7, v69
	v_fmac_f32_e32 v30, 0xbf5db3d7, v70
	v_add_f32_e32 v25, v67, v73
	v_add_f32_e32 v26, v68, v71
	;; [unrolled: 1-line block ×4, first 2 shown]
	v_fmac_f32_e32 v31, 0xbf5db3d7, v72
	ds_write2_b64 v62, v[25:26], v[27:28] offset1:54
	v_sub_f32_e32 v25, v67, v73
	v_fmac_f32_e32 v64, 0x3f5db3d7, v74
	v_mul_f32_e32 v67, -0.5, v31
	v_fmac_f32_e32 v67, 0x3f5db3d7, v64
	v_mul_f32_e32 v64, -0.5, v64
	v_fmac_f32_e32 v65, 0xbf5db3d7, v69
	v_fmac_f32_e32 v66, 0x3f5db3d7, v70
	;; [unrolled: 1-line block ×3, first 2 shown]
	v_sub_f32_e32 v26, v68, v71
	v_add_f32_e32 v27, v65, v67
	v_add_f32_e32 v28, v66, v64
	ds_write2_b64 v62, v[27:28], v[25:26] offset0:108 offset1:162
	v_sub_f32_e32 v25, v29, v75
	v_sub_f32_e32 v26, v30, v76
	;; [unrolled: 1-line block ×4, first 2 shown]
	v_add_u32_e32 v64, 0x400, v62
	ds_write2_b64 v64, v[25:26], v[27:28] offset0:88 offset1:142
	v_lshlrev_b32_e32 v25, 4, v52
	s_waitcnt lgkmcnt(0)
	s_barrier
	global_load_dwordx4 v[28:31], v25, s[10:11] offset:2568
	s_nop 0
	global_load_dwordx4 v[24:27], v24, s[10:11] offset:2568
	ds_read2_b64 v[65:68], v54 offset0:68 offset1:230
	ds_read2_b64 v[69:72], v55 offset0:8 offset1:170
	s_waitcnt vmcnt(1) lgkmcnt(1)
	v_mul_f32_e32 v73, v66, v29
	v_mul_f32_e32 v74, v65, v29
	s_waitcnt vmcnt(0)
	v_mul_f32_e32 v75, v68, v25
	v_mul_f32_e32 v76, v67, v25
	v_fma_f32 v73, v65, v28, -v73
	s_waitcnt lgkmcnt(0)
	v_mul_f32_e32 v65, v72, v27
	v_fmac_f32_e32 v74, v66, v28
	v_fma_f32 v75, v67, v24, -v75
	v_fmac_f32_e32 v76, v68, v24
	v_fma_f32 v80, v71, v26, -v65
	ds_read2_b64 v[65:68], v53 offset1:162
	v_mul_f32_e32 v77, v70, v31
	v_mul_f32_e32 v78, v69, v31
	;; [unrolled: 1-line block ×3, first 2 shown]
	v_fma_f32 v77, v69, v30, -v77
	v_fmac_f32_e32 v78, v70, v30
	v_fmac_f32_e32 v79, v72, v26
	v_add_f32_e32 v71, v74, v78
	v_add_f32_e32 v72, v73, v77
	s_waitcnt lgkmcnt(0)
	v_add_f32_e32 v69, v65, v73
	v_add_f32_e32 v70, v66, v74
	v_sub_f32_e32 v81, v74, v78
	v_fma_f32 v65, -0.5, v72, v65
	v_fma_f32 v66, -0.5, v71, v66
	v_sub_f32_e32 v73, v73, v77
	v_mov_b32_e32 v71, v65
	v_mov_b32_e32 v72, v66
	v_fmac_f32_e32 v65, 0xbf5db3d7, v81
	v_fmac_f32_e32 v66, 0x3f5db3d7, v73
	ds_write_b64 v53, v[65:66] offset:5184
	v_add_f32_e32 v65, v67, v75
	v_add_f32_e32 v66, v68, v76
	v_add_f32_e32 v69, v69, v77
	v_add_f32_e32 v70, v70, v78
	v_fmac_f32_e32 v71, 0x3f5db3d7, v81
	v_fmac_f32_e32 v72, 0xbf5db3d7, v73
	v_add_f32_e32 v65, v65, v80
	v_add_f32_e32 v66, v66, v79
	ds_write_b64 v53, v[71:72] offset:2592
	ds_write2_b64 v53, v[69:70], v[65:66] offset1:162
	v_add_f32_e32 v65, v75, v80
	v_fma_f32 v67, -0.5, v65, v67
	v_add_f32_e32 v65, v76, v79
	v_fmac_f32_e32 v68, -0.5, v65
	v_sub_f32_e32 v69, v76, v79
	v_sub_f32_e32 v70, v75, v80
	v_mov_b32_e32 v65, v67
	v_mov_b32_e32 v66, v68
	v_fmac_f32_e32 v67, 0xbf5db3d7, v69
	v_fmac_f32_e32 v68, 0x3f5db3d7, v70
	;; [unrolled: 1-line block ×4, first 2 shown]
	ds_write_b64 v53, v[67:68] offset:6480
	ds_write_b64 v53, v[65:66] offset:3888
	s_waitcnt lgkmcnt(0)
	s_barrier
	global_load_dwordx2 v[45:46], v[45:46], off offset:3680
	v_add_co_u32_e32 v65, vcc, s6, v56
	v_addc_co_u32_e32 v66, vcc, 0, v57, vcc
	global_load_dwordx2 v[69:70], v[65:66], off offset:1296
	global_load_dwordx2 v[71:72], v[65:66], off offset:2592
	;; [unrolled: 1-line block ×3, first 2 shown]
	s_movk_i32 s6, 0x3000
	v_add_co_u32_e32 v56, vcc, s6, v56
	v_addc_co_u32_e32 v57, vcc, 0, v57, vcc
	global_load_dwordx2 v[75:76], v[56:57], off offset:672
	global_load_dwordx2 v[77:78], v[56:57], off offset:1968
	ds_read2_b64 v[65:68], v53 offset1:162
	s_waitcnt vmcnt(5) lgkmcnt(0)
	v_mul_f32_e32 v56, v66, v46
	v_mul_f32_e32 v57, v65, v46
	v_fma_f32 v56, v65, v45, -v56
	v_fmac_f32_e32 v57, v66, v45
	s_waitcnt vmcnt(4)
	v_mul_f32_e32 v45, v68, v70
	v_mul_f32_e32 v46, v67, v70
	ds_write_b64 v53, v[56:57]
	v_fma_f32 v45, v67, v69, -v45
	v_fmac_f32_e32 v46, v68, v69
	ds_read2_b64 v[65:68], v54 offset0:68 offset1:230
	s_waitcnt vmcnt(3) lgkmcnt(0)
	v_mul_f32_e32 v56, v66, v72
	v_mul_f32_e32 v57, v65, v72
	s_waitcnt vmcnt(2)
	v_mul_f32_e32 v69, v68, v74
	v_mul_f32_e32 v70, v67, v74
	v_fma_f32 v56, v65, v71, -v56
	v_fmac_f32_e32 v57, v66, v71
	v_fma_f32 v69, v67, v73, -v69
	v_fmac_f32_e32 v70, v68, v73
	ds_read2_b64 v[65:68], v55 offset0:8 offset1:170
	v_add_u32_e32 v73, 0x400, v53
	v_add_u32_e32 v74, 0xe00, v53
	s_waitcnt vmcnt(1) lgkmcnt(0)
	v_mul_f32_e32 v71, v66, v76
	v_mul_f32_e32 v72, v65, v76
	v_fma_f32 v71, v65, v75, -v71
	v_fmac_f32_e32 v72, v66, v75
	s_waitcnt vmcnt(0)
	v_mul_f32_e32 v65, v68, v78
	v_mul_f32_e32 v66, v67, v78
	v_fma_f32 v65, v67, v77, -v65
	v_fmac_f32_e32 v66, v68, v77
	ds_write2_b64 v73, v[45:46], v[56:57] offset0:34 offset1:196
	ds_write2_b64 v74, v[69:70], v[71:72] offset0:38 offset1:200
	ds_write_b64 v53, v[65:66] offset:6480
	s_waitcnt lgkmcnt(0)
	s_barrier
	ds_read2_b64 v[65:68], v53 offset1:162
	ds_read2_b64 v[69:72], v54 offset0:68 offset1:230
	ds_read2_b64 v[73:76], v55 offset0:8 offset1:170
	s_waitcnt lgkmcnt(0)
	s_barrier
	v_add_f32_e32 v46, v66, v70
	v_add_f32_e32 v77, v69, v73
	v_sub_f32_e32 v78, v70, v74
	v_add_f32_e32 v70, v70, v74
	v_add_f32_e32 v45, v65, v69
	v_fma_f32 v65, -0.5, v77, v65
	v_fma_f32 v66, -0.5, v70, v66
	v_sub_f32_e32 v79, v69, v73
	v_add_f32_e32 v80, v71, v75
	v_sub_f32_e32 v81, v72, v76
	v_add_f32_e32 v57, v68, v72
	v_add_f32_e32 v72, v72, v76
	v_mov_b32_e32 v69, v65
	v_mov_b32_e32 v70, v66
	v_add_f32_e32 v56, v67, v71
	v_add_f32_e32 v45, v45, v73
	;; [unrolled: 1-line block ×3, first 2 shown]
	v_fmac_f32_e32 v69, 0xbf5db3d7, v78
	v_fmac_f32_e32 v70, 0x3f5db3d7, v79
	v_fma_f32 v67, -0.5, v80, v67
	v_fmac_f32_e32 v68, -0.5, v72
	v_sub_f32_e32 v71, v71, v75
	ds_write2_b64 v58, v[45:46], v[69:70] offset1:1
	v_mov_b32_e32 v45, v67
	v_mov_b32_e32 v46, v68
	v_add_f32_e32 v56, v56, v75
	v_add_f32_e32 v57, v57, v76
	v_fmac_f32_e32 v65, 0x3f5db3d7, v78
	v_fmac_f32_e32 v66, 0xbf5db3d7, v79
	;; [unrolled: 1-line block ×6, first 2 shown]
	ds_write_b64 v58, v[65:66] offset:16
	ds_write2_b64 v59, v[56:57], v[45:46] offset1:1
	ds_write_b64 v59, v[67:68] offset:16
	s_waitcnt lgkmcnt(0)
	s_barrier
	ds_read2_b64 v[56:59], v55 offset0:8 offset1:170
	s_waitcnt lgkmcnt(0)
	v_mul_f32_e32 v65, v48, v59
	v_mul_f32_e32 v45, v48, v58
	v_fmac_f32_e32 v65, v47, v58
	v_fma_f32 v58, v47, v59, -v45
	ds_read2_b64 v[45:48], v54 offset0:68 offset1:230
	v_mul_f32_e32 v59, v7, v57
	v_mul_f32_e32 v7, v7, v56
	v_fmac_f32_e32 v59, v6, v56
	v_fma_f32 v56, v6, v57, -v7
	s_waitcnt lgkmcnt(0)
	v_mul_f32_e32 v57, v5, v48
	v_mul_f32_e32 v5, v5, v47
	v_fmac_f32_e32 v57, v4, v47
	v_fma_f32 v47, v4, v48, -v5
	ds_read2_b64 v[4:7], v53 offset1:162
	v_mul_f32_e32 v48, v3, v46
	v_fmac_f32_e32 v48, v2, v45
	v_mul_f32_e32 v3, v3, v45
	v_fma_f32 v2, v2, v46, -v3
	s_waitcnt lgkmcnt(0)
	v_mul_f32_e32 v45, v1, v7
	v_mul_f32_e32 v1, v1, v6
	v_fmac_f32_e32 v45, v0, v6
	v_fma_f32 v6, v0, v7, -v1
	v_add_f32_e32 v0, v48, v59
	v_fma_f32 v7, -0.5, v0, v4
	v_add_f32_e32 v0, v2, v56
	v_add_f32_e32 v1, v5, v2
	v_fma_f32 v46, -0.5, v0, v5
	v_add_f32_e32 v0, v4, v48
	v_add_f32_e32 v5, v1, v56
	;; [unrolled: 1-line block ×3, first 2 shown]
	v_sub_f32_e32 v4, v2, v56
	v_add_f32_e32 v56, v0, v59
	v_add_f32_e32 v0, v45, v57
	v_fmac_f32_e32 v45, -0.5, v1
	v_add_f32_e32 v1, v6, v47
	v_sub_f32_e32 v48, v48, v59
	v_add_f32_e32 v59, v1, v58
	v_add_f32_e32 v1, v47, v58
	v_fmac_f32_e32 v6, -0.5, v1
	v_sub_f32_e32 v57, v57, v65
	v_mov_b32_e32 v1, v6
	v_sub_f32_e32 v66, v47, v58
	v_add_f32_e32 v47, v0, v65
	v_mov_b32_e32 v0, v45
	v_fmac_f32_e32 v1, 0x3f5db3d7, v57
	v_fmac_f32_e32 v0, 0xbf5db3d7, v66
	v_mul_f32_e32 v58, 0xbf5db3d7, v1
	v_mul_f32_e32 v65, 0.5, v1
	v_mov_b32_e32 v67, v7
	v_mov_b32_e32 v68, v46
	v_fmac_f32_e32 v58, 0.5, v0
	v_fmac_f32_e32 v65, 0x3f5db3d7, v0
	v_fmac_f32_e32 v67, 0xbf5db3d7, v4
	;; [unrolled: 1-line block ×3, first 2 shown]
	v_add_f32_e32 v0, v56, v47
	v_add_f32_e32 v1, v5, v59
	;; [unrolled: 1-line block ×4, first 2 shown]
	v_fmac_f32_e32 v6, 0xbf5db3d7, v57
	s_barrier
	ds_write2_b64 v60, v[0:1], v[2:3] offset1:3
	v_sub_f32_e32 v1, v5, v59
	v_fmac_f32_e32 v7, 0x3f5db3d7, v4
	v_fmac_f32_e32 v45, 0x3f5db3d7, v66
	v_mul_f32_e32 v4, 0xbf5db3d7, v6
	v_mul_f32_e32 v5, -0.5, v6
	v_fmac_f32_e32 v46, 0xbf5db3d7, v48
	v_fmac_f32_e32 v4, -0.5, v45
	v_fmac_f32_e32 v5, 0x3f5db3d7, v45
	v_sub_f32_e32 v0, v56, v47
	v_add_f32_e32 v2, v7, v4
	v_add_f32_e32 v3, v46, v5
	ds_write2_b64 v60, v[2:3], v[0:1] offset0:6 offset1:9
	v_sub_f32_e32 v0, v67, v58
	v_sub_f32_e32 v1, v68, v65
	;; [unrolled: 1-line block ×4, first 2 shown]
	ds_write2_b64 v60, v[0:1], v[2:3] offset0:12 offset1:15
	s_waitcnt lgkmcnt(0)
	s_barrier
	ds_read2_b64 v[0:3], v54 offset0:68 offset1:230
	ds_read2_b64 v[4:7], v55 offset0:8 offset1:170
	s_waitcnt lgkmcnt(1)
	v_mul_f32_e32 v45, v9, v1
	v_fmac_f32_e32 v45, v8, v0
	v_mul_f32_e32 v0, v9, v0
	v_fma_f32 v8, v8, v1, -v0
	s_waitcnt lgkmcnt(0)
	v_mul_f32_e32 v9, v11, v5
	v_mul_f32_e32 v0, v11, v4
	v_fmac_f32_e32 v9, v10, v4
	v_fma_f32 v10, v10, v5, -v0
	v_mul_f32_e32 v11, v13, v3
	v_mul_f32_e32 v0, v13, v2
	v_fmac_f32_e32 v11, v12, v2
	v_fma_f32 v12, v12, v3, -v0
	ds_read2_b64 v[0:3], v53 offset1:162
	v_mul_f32_e32 v13, v15, v7
	v_mul_f32_e32 v4, v15, v6
	v_fmac_f32_e32 v13, v14, v6
	v_fma_f32 v14, v14, v7, -v4
	v_add_f32_e32 v6, v8, v10
	v_add_f32_e32 v7, v45, v9
	s_waitcnt lgkmcnt(0)
	v_add_f32_e32 v4, v0, v45
	v_add_f32_e32 v5, v1, v8
	v_fma_f32 v0, -0.5, v7, v0
	v_fma_f32 v1, -0.5, v6, v1
	v_sub_f32_e32 v15, v8, v10
	v_sub_f32_e32 v8, v45, v9
	v_mov_b32_e32 v6, v0
	v_mov_b32_e32 v7, v1
	v_add_f32_e32 v4, v4, v9
	v_add_f32_e32 v5, v5, v10
	v_fmac_f32_e32 v6, 0xbf5db3d7, v15
	v_fmac_f32_e32 v7, 0x3f5db3d7, v8
	;; [unrolled: 1-line block ×4, first 2 shown]
	s_barrier
	ds_write2_b64 v61, v[4:5], v[6:7] offset1:18
	ds_write_b64 v61, v[0:1] offset:288
	v_add_f32_e32 v1, v11, v13
	v_add_f32_e32 v4, v12, v14
	;; [unrolled: 1-line block ×3, first 2 shown]
	v_fma_f32 v2, -0.5, v1, v2
	v_add_f32_e32 v1, v3, v12
	v_fmac_f32_e32 v3, -0.5, v4
	v_sub_f32_e32 v6, v12, v14
	v_sub_f32_e32 v7, v11, v13
	v_mov_b32_e32 v4, v2
	v_mov_b32_e32 v5, v3
	v_add_f32_e32 v0, v0, v13
	v_add_f32_e32 v1, v1, v14
	v_fmac_f32_e32 v4, 0xbf5db3d7, v6
	v_fmac_f32_e32 v5, 0x3f5db3d7, v7
	;; [unrolled: 1-line block ×4, first 2 shown]
	ds_write2_b64 v63, v[0:1], v[4:5] offset1:18
	ds_write_b64 v63, v[2:3] offset:288
	s_waitcnt lgkmcnt(0)
	s_barrier
	ds_read2_b64 v[0:3], v55 offset0:8 offset1:170
	s_waitcnt lgkmcnt(0)
	v_mul_f32_e32 v8, v50, v3
	v_fmac_f32_e32 v8, v49, v2
	v_mul_f32_e32 v2, v50, v2
	v_fma_f32 v9, v49, v3, -v2
	ds_read2_b64 v[2:5], v54 offset0:68 offset1:230
	v_mul_f32_e32 v10, v23, v1
	v_fmac_f32_e32 v10, v22, v0
	v_mul_f32_e32 v0, v23, v0
	v_fma_f32 v0, v22, v1, -v0
	s_waitcnt lgkmcnt(0)
	v_mul_f32_e32 v1, v21, v5
	v_fmac_f32_e32 v1, v20, v4
	v_mul_f32_e32 v4, v21, v4
	v_fma_f32 v11, v20, v5, -v4
	ds_read2_b64 v[4:7], v53 offset1:162
	v_mul_f32_e32 v12, v19, v3
	v_fmac_f32_e32 v12, v18, v2
	v_mul_f32_e32 v2, v19, v2
	v_fma_f32 v2, v18, v3, -v2
	s_waitcnt lgkmcnt(0)
	v_mul_f32_e32 v13, v17, v7
	v_mul_f32_e32 v3, v17, v6
	v_fmac_f32_e32 v13, v16, v6
	v_fma_f32 v6, v16, v7, -v3
	v_add_f32_e32 v3, v12, v10
	v_fma_f32 v7, -0.5, v3, v4
	v_add_f32_e32 v3, v2, v0
	v_fma_f32 v14, -0.5, v3, v5
	v_add_f32_e32 v3, v4, v12
	v_add_f32_e32 v4, v5, v2
	v_sub_f32_e32 v5, v2, v0
	v_add_f32_e32 v2, v1, v8
	v_add_f32_e32 v4, v4, v0
	;; [unrolled: 1-line block ×3, first 2 shown]
	v_fmac_f32_e32 v13, -0.5, v2
	v_add_f32_e32 v2, v6, v11
	v_add_f32_e32 v15, v3, v10
	v_sub_f32_e32 v10, v12, v10
	v_add_f32_e32 v12, v2, v9
	v_add_f32_e32 v2, v11, v9
	v_fmac_f32_e32 v6, -0.5, v2
	v_sub_f32_e32 v16, v11, v9
	v_add_f32_e32 v9, v0, v8
	v_sub_f32_e32 v8, v1, v8
	v_mov_b32_e32 v1, v6
	v_mov_b32_e32 v0, v13
	v_fmac_f32_e32 v1, 0x3f5db3d7, v8
	v_fmac_f32_e32 v0, 0xbf5db3d7, v16
	v_mul_f32_e32 v11, 0xbf5db3d7, v1
	v_mul_f32_e32 v17, 0.5, v1
	v_mov_b32_e32 v18, v7
	v_mov_b32_e32 v19, v14
	v_fmac_f32_e32 v11, 0.5, v0
	v_fmac_f32_e32 v17, 0x3f5db3d7, v0
	v_fmac_f32_e32 v18, 0xbf5db3d7, v5
	;; [unrolled: 1-line block ×3, first 2 shown]
	v_add_f32_e32 v0, v15, v9
	v_add_f32_e32 v1, v4, v12
	;; [unrolled: 1-line block ×4, first 2 shown]
	v_fmac_f32_e32 v6, 0xbf5db3d7, v8
	s_barrier
	ds_write2_b64 v62, v[0:1], v[2:3] offset1:54
	v_sub_f32_e32 v1, v4, v12
	v_fmac_f32_e32 v7, 0x3f5db3d7, v5
	v_fmac_f32_e32 v13, 0x3f5db3d7, v16
	v_mul_f32_e32 v4, 0xbf5db3d7, v6
	v_mul_f32_e32 v5, -0.5, v6
	v_fmac_f32_e32 v14, 0xbf5db3d7, v10
	v_fmac_f32_e32 v4, -0.5, v13
	v_fmac_f32_e32 v5, 0x3f5db3d7, v13
	v_sub_f32_e32 v0, v15, v9
	v_add_f32_e32 v2, v7, v4
	v_add_f32_e32 v3, v14, v5
	ds_write2_b64 v62, v[2:3], v[0:1] offset0:108 offset1:162
	v_sub_f32_e32 v0, v18, v11
	v_sub_f32_e32 v2, v7, v4
	;; [unrolled: 1-line block ×4, first 2 shown]
	ds_write2_b64 v64, v[0:1], v[2:3] offset0:88 offset1:142
	s_waitcnt lgkmcnt(0)
	s_barrier
	ds_read2_b64 v[0:3], v54 offset0:68 offset1:230
	ds_read2_b64 v[4:7], v55 offset0:8 offset1:170
	s_waitcnt lgkmcnt(1)
	v_mul_f32_e32 v10, v29, v1
	v_fmac_f32_e32 v10, v28, v0
	v_mul_f32_e32 v0, v29, v0
	v_fma_f32 v11, v28, v1, -v0
	s_waitcnt lgkmcnt(0)
	v_mul_f32_e32 v0, v31, v4
	v_mul_f32_e32 v12, v31, v5
	v_fma_f32 v5, v30, v5, -v0
	v_mul_f32_e32 v13, v25, v3
	v_mul_f32_e32 v0, v25, v2
	v_fmac_f32_e32 v13, v24, v2
	v_fma_f32 v14, v24, v3, -v0
	ds_read2_b64 v[0:3], v53 offset1:162
	v_fmac_f32_e32 v12, v30, v4
	v_mul_f32_e32 v4, v27, v6
	v_fma_f32 v16, v26, v7, -v4
	v_add_f32_e32 v4, v10, v12
	s_waitcnt lgkmcnt(0)
	v_fma_f32 v4, -0.5, v4, v0
	v_add_f32_e32 v0, v0, v10
	v_add_f32_e32 v8, v0, v12
	;; [unrolled: 1-line block ×3, first 2 shown]
	v_mul_f32_e32 v15, v27, v7
	v_add_f32_e32 v9, v0, v5
	v_add_f32_e32 v0, v11, v5
	v_fmac_f32_e32 v15, v26, v6
	v_sub_f32_e32 v7, v11, v5
	v_mov_b32_e32 v6, v4
	v_fma_f32 v5, -0.5, v0, v1
	v_fmac_f32_e32 v6, 0xbf5db3d7, v7
	v_fmac_f32_e32 v4, 0x3f5db3d7, v7
	v_sub_f32_e32 v0, v10, v12
	v_mov_b32_e32 v7, v5
	v_fmac_f32_e32 v7, 0x3f5db3d7, v0
	v_fmac_f32_e32 v5, 0xbf5db3d7, v0
	v_add_f32_e32 v0, v13, v15
	v_add_f32_e32 v1, v2, v13
	v_fma_f32 v2, -0.5, v0, v2
	v_sub_f32_e32 v10, v14, v16
	v_mov_b32_e32 v0, v2
	v_fmac_f32_e32 v0, 0xbf5db3d7, v10
	v_fmac_f32_e32 v2, 0x3f5db3d7, v10
	v_add_f32_e32 v10, v1, v15
	v_add_f32_e32 v1, v3, v14
	;; [unrolled: 1-line block ×4, first 2 shown]
	v_fmac_f32_e32 v3, -0.5, v1
	v_sub_f32_e32 v14, v13, v15
	v_mov_b32_e32 v1, v3
	v_mad_u64_u32 v[12:13], s[6:7], s2, v32, 0
	v_fmac_f32_e32 v1, 0x3f5db3d7, v14
	v_fmac_f32_e32 v3, 0xbf5db3d7, v14
	ds_write_b64 v53, v[6:7] offset:2592
	ds_write_b64 v53, v[4:5] offset:5184
	ds_write2_b64 v53, v[8:9], v[10:11] offset1:162
	ds_write_b64 v53, v[0:1] offset:3888
	ds_write_b64 v53, v[2:3] offset:6480
	s_waitcnt lgkmcnt(0)
	s_barrier
	ds_read2_b64 v[0:3], v53 offset1:162
	v_mov_b32_e32 v4, v13
	v_mad_u64_u32 v[4:5], s[2:3], s3, v32, v[4:5]
	s_mov_b32 s2, 0xa88f4696
	s_waitcnt lgkmcnt(0)
	v_mul_f32_e32 v5, v42, v1
	v_fmac_f32_e32 v5, v41, v0
	v_cvt_f64_f32_e32 v[5:6], v5
	s_mov_b32 s3, 0x3f50db20
	v_mul_f32_e32 v0, v42, v0
	v_fma_f32 v0, v41, v1, -v0
	v_mul_f64 v[5:6], v[5:6], s[2:3]
	v_cvt_f64_f32_e32 v[0:1], v0
	v_mad_u64_u32 v[8:9], s[6:7], s0, v52, 0
	v_mov_b32_e32 v13, v4
	v_mul_f64 v[0:1], v[0:1], s[2:3]
	v_mov_b32_e32 v4, v9
	v_mov_b32_e32 v14, s5
	v_mad_u64_u32 v[9:10], s[6:7], s1, v52, v[4:5]
	v_cvt_f32_f64_e32 v10, v[5:6]
	ds_read2_b64 v[4:7], v54 offset0:68 offset1:230
	v_lshlrev_b64 v[8:9], 3, v[8:9]
	v_cvt_f32_f64_e32 v11, v[0:1]
	v_lshlrev_b64 v[0:1], 3, v[12:13]
	s_mul_hi_u32 s5, s0, 0xa20
	s_waitcnt lgkmcnt(0)
	v_mul_f32_e32 v12, v44, v5
	v_fmac_f32_e32 v12, v43, v4
	v_mul_f32_e32 v4, v44, v4
	v_fma_f32 v4, v43, v5, -v4
	v_cvt_f64_f32_e32 v[12:13], v12
	v_cvt_f64_f32_e32 v[4:5], v4
	v_add_co_u32_e32 v15, vcc, s4, v0
	v_addc_co_u32_e32 v14, vcc, v14, v1, vcc
	v_mul_f64 v[0:1], v[12:13], s[2:3]
	v_mul_f64 v[4:5], v[4:5], s[2:3]
	v_add_co_u32_e32 v12, vcc, v15, v8
	v_addc_co_u32_e32 v13, vcc, v14, v9, vcc
	global_store_dwordx2 v[12:13], v[10:11], off
	ds_read2_b64 v[8:11], v55 offset0:8 offset1:170
	v_cvt_f32_f64_e32 v0, v[0:1]
	v_cvt_f32_f64_e32 v1, v[4:5]
	s_mul_i32 s4, s1, 0xa20
	s_add_i32 s6, s5, s4
	s_waitcnt lgkmcnt(0)
	v_mul_f32_e32 v4, v38, v9
	v_fmac_f32_e32 v4, v37, v8
	v_mul_f32_e32 v8, v38, v8
	v_fma_f32 v8, v37, v9, -v8
	v_cvt_f64_f32_e32 v[4:5], v4
	v_cvt_f64_f32_e32 v[8:9], v8
	s_mul_i32 s7, s0, 0xa20
	v_mov_b32_e32 v14, s6
	v_add_co_u32_e32 v12, vcc, s7, v12
	v_addc_co_u32_e32 v13, vcc, v13, v14, vcc
	global_store_dwordx2 v[12:13], v[0:1], off
	v_mul_f64 v[0:1], v[4:5], s[2:3]
	v_mul_f64 v[4:5], v[8:9], s[2:3]
	v_mul_f32_e32 v8, v40, v3
	v_fmac_f32_e32 v8, v39, v2
	v_cvt_f64_f32_e32 v[8:9], v8
	v_mul_f32_e32 v2, v40, v2
	v_fma_f32 v2, v39, v3, -v2
	v_cvt_f64_f32_e32 v[2:3], v2
	v_cvt_f32_f64_e32 v0, v[0:1]
	v_cvt_f32_f64_e32 v1, v[4:5]
	v_mul_f64 v[4:5], v[8:9], s[2:3]
	v_mul_f64 v[2:3], v[2:3], s[2:3]
	v_mov_b32_e32 v9, s6
	v_add_co_u32_e32 v8, vcc, s7, v12
	v_addc_co_u32_e32 v9, vcc, v13, v9, vcc
	global_store_dwordx2 v[8:9], v[0:1], off
	v_cvt_f32_f64_e32 v0, v[4:5]
	v_mul_f32_e32 v4, v34, v7
	v_fmac_f32_e32 v4, v33, v6
	v_mul_f32_e32 v6, v34, v6
	v_cvt_f32_f64_e32 v1, v[2:3]
	v_mad_u64_u32 v[2:3], s[4:5], s0, v51, v[8:9]
	v_fma_f32 v6, v33, v7, -v6
	v_cvt_f64_f32_e32 v[4:5], v4
	v_cvt_f64_f32_e32 v[6:7], v6
	s_mulk_i32 s1, 0xf0d0
	s_sub_i32 s0, s1, s0
	v_add_u32_e32 v3, s0, v3
	global_store_dwordx2 v[2:3], v[0:1], off
	v_mul_f64 v[0:1], v[4:5], s[2:3]
	v_mul_f64 v[4:5], v[6:7], s[2:3]
	v_mul_f32_e32 v6, v36, v11
	v_mul_f32_e32 v8, v36, v10
	v_fmac_f32_e32 v6, v35, v10
	v_fma_f32 v8, v35, v11, -v8
	v_cvt_f64_f32_e32 v[6:7], v6
	v_cvt_f64_f32_e32 v[8:9], v8
	v_cvt_f32_f64_e32 v0, v[0:1]
	v_cvt_f32_f64_e32 v1, v[4:5]
	v_mul_f64 v[4:5], v[6:7], s[2:3]
	v_mul_f64 v[6:7], v[8:9], s[2:3]
	v_mov_b32_e32 v8, s6
	v_add_co_u32_e32 v2, vcc, s7, v2
	v_addc_co_u32_e32 v3, vcc, v3, v8, vcc
	global_store_dwordx2 v[2:3], v[0:1], off
	v_cvt_f32_f64_e32 v0, v[4:5]
	v_cvt_f32_f64_e32 v1, v[6:7]
	v_mov_b32_e32 v4, s6
	v_add_co_u32_e32 v2, vcc, s7, v2
	v_addc_co_u32_e32 v3, vcc, v3, v4, vcc
	global_store_dwordx2 v[2:3], v[0:1], off
.LBB0_2:
	s_endpgm
	.section	.rodata,"a",@progbits
	.p2align	6, 0x0
	.amdhsa_kernel bluestein_single_fwd_len972_dim1_sp_op_CI_CI
		.amdhsa_group_segment_fixed_size 7776
		.amdhsa_private_segment_fixed_size 0
		.amdhsa_kernarg_size 104
		.amdhsa_user_sgpr_count 6
		.amdhsa_user_sgpr_private_segment_buffer 1
		.amdhsa_user_sgpr_dispatch_ptr 0
		.amdhsa_user_sgpr_queue_ptr 0
		.amdhsa_user_sgpr_kernarg_segment_ptr 1
		.amdhsa_user_sgpr_dispatch_id 0
		.amdhsa_user_sgpr_flat_scratch_init 0
		.amdhsa_user_sgpr_private_segment_size 0
		.amdhsa_uses_dynamic_stack 0
		.amdhsa_system_sgpr_private_segment_wavefront_offset 0
		.amdhsa_system_sgpr_workgroup_id_x 1
		.amdhsa_system_sgpr_workgroup_id_y 0
		.amdhsa_system_sgpr_workgroup_id_z 0
		.amdhsa_system_sgpr_workgroup_info 0
		.amdhsa_system_vgpr_workitem_id 0
		.amdhsa_next_free_vgpr 82
		.amdhsa_next_free_sgpr 20
		.amdhsa_reserve_vcc 1
		.amdhsa_reserve_flat_scratch 0
		.amdhsa_float_round_mode_32 0
		.amdhsa_float_round_mode_16_64 0
		.amdhsa_float_denorm_mode_32 3
		.amdhsa_float_denorm_mode_16_64 3
		.amdhsa_dx10_clamp 1
		.amdhsa_ieee_mode 1
		.amdhsa_fp16_overflow 0
		.amdhsa_exception_fp_ieee_invalid_op 0
		.amdhsa_exception_fp_denorm_src 0
		.amdhsa_exception_fp_ieee_div_zero 0
		.amdhsa_exception_fp_ieee_overflow 0
		.amdhsa_exception_fp_ieee_underflow 0
		.amdhsa_exception_fp_ieee_inexact 0
		.amdhsa_exception_int_div_zero 0
	.end_amdhsa_kernel
	.text
.Lfunc_end0:
	.size	bluestein_single_fwd_len972_dim1_sp_op_CI_CI, .Lfunc_end0-bluestein_single_fwd_len972_dim1_sp_op_CI_CI
                                        ; -- End function
	.section	.AMDGPU.csdata,"",@progbits
; Kernel info:
; codeLenInByte = 5404
; NumSgprs: 24
; NumVgprs: 82
; ScratchSize: 0
; MemoryBound: 0
; FloatMode: 240
; IeeeMode: 1
; LDSByteSize: 7776 bytes/workgroup (compile time only)
; SGPRBlocks: 2
; VGPRBlocks: 20
; NumSGPRsForWavesPerEU: 24
; NumVGPRsForWavesPerEU: 82
; Occupancy: 3
; WaveLimiterHint : 1
; COMPUTE_PGM_RSRC2:SCRATCH_EN: 0
; COMPUTE_PGM_RSRC2:USER_SGPR: 6
; COMPUTE_PGM_RSRC2:TRAP_HANDLER: 0
; COMPUTE_PGM_RSRC2:TGID_X_EN: 1
; COMPUTE_PGM_RSRC2:TGID_Y_EN: 0
; COMPUTE_PGM_RSRC2:TGID_Z_EN: 0
; COMPUTE_PGM_RSRC2:TIDIG_COMP_CNT: 0
	.type	__hip_cuid_836d09272e082003,@object ; @__hip_cuid_836d09272e082003
	.section	.bss,"aw",@nobits
	.globl	__hip_cuid_836d09272e082003
__hip_cuid_836d09272e082003:
	.byte	0                               ; 0x0
	.size	__hip_cuid_836d09272e082003, 1

	.ident	"AMD clang version 19.0.0git (https://github.com/RadeonOpenCompute/llvm-project roc-6.4.0 25133 c7fe45cf4b819c5991fe208aaa96edf142730f1d)"
	.section	".note.GNU-stack","",@progbits
	.addrsig
	.addrsig_sym __hip_cuid_836d09272e082003
	.amdgpu_metadata
---
amdhsa.kernels:
  - .args:
      - .actual_access:  read_only
        .address_space:  global
        .offset:         0
        .size:           8
        .value_kind:     global_buffer
      - .actual_access:  read_only
        .address_space:  global
        .offset:         8
        .size:           8
        .value_kind:     global_buffer
      - .actual_access:  read_only
        .address_space:  global
        .offset:         16
        .size:           8
        .value_kind:     global_buffer
      - .actual_access:  read_only
        .address_space:  global
        .offset:         24
        .size:           8
        .value_kind:     global_buffer
      - .actual_access:  read_only
        .address_space:  global
        .offset:         32
        .size:           8
        .value_kind:     global_buffer
      - .offset:         40
        .size:           8
        .value_kind:     by_value
      - .address_space:  global
        .offset:         48
        .size:           8
        .value_kind:     global_buffer
      - .address_space:  global
        .offset:         56
        .size:           8
        .value_kind:     global_buffer
      - .address_space:  global
        .offset:         64
        .size:           8
        .value_kind:     global_buffer
      - .address_space:  global
        .offset:         72
        .size:           8
        .value_kind:     global_buffer
      - .offset:         80
        .size:           4
        .value_kind:     by_value
      - .address_space:  global
        .offset:         88
        .size:           8
        .value_kind:     global_buffer
      - .address_space:  global
        .offset:         96
        .size:           8
        .value_kind:     global_buffer
    .group_segment_fixed_size: 7776
    .kernarg_segment_align: 8
    .kernarg_segment_size: 104
    .language:       OpenCL C
    .language_version:
      - 2
      - 0
    .max_flat_workgroup_size: 162
    .name:           bluestein_single_fwd_len972_dim1_sp_op_CI_CI
    .private_segment_fixed_size: 0
    .sgpr_count:     24
    .sgpr_spill_count: 0
    .symbol:         bluestein_single_fwd_len972_dim1_sp_op_CI_CI.kd
    .uniform_work_group_size: 1
    .uses_dynamic_stack: false
    .vgpr_count:     82
    .vgpr_spill_count: 0
    .wavefront_size: 64
amdhsa.target:   amdgcn-amd-amdhsa--gfx906
amdhsa.version:
  - 1
  - 2
...

	.end_amdgpu_metadata
